;; amdgpu-corpus repo=ROCm/rocFFT kind=compiled arch=gfx906 opt=O3
	.text
	.amdgcn_target "amdgcn-amd-amdhsa--gfx906"
	.amdhsa_code_object_version 6
	.protected	fft_rtc_fwd_len858_factors_13_11_6_wgs_234_tpt_78_halfLds_sp_ip_CI_unitstride_sbrr_C2R_dirReg ; -- Begin function fft_rtc_fwd_len858_factors_13_11_6_wgs_234_tpt_78_halfLds_sp_ip_CI_unitstride_sbrr_C2R_dirReg
	.globl	fft_rtc_fwd_len858_factors_13_11_6_wgs_234_tpt_78_halfLds_sp_ip_CI_unitstride_sbrr_C2R_dirReg
	.p2align	8
	.type	fft_rtc_fwd_len858_factors_13_11_6_wgs_234_tpt_78_halfLds_sp_ip_CI_unitstride_sbrr_C2R_dirReg,@function
fft_rtc_fwd_len858_factors_13_11_6_wgs_234_tpt_78_halfLds_sp_ip_CI_unitstride_sbrr_C2R_dirReg: ; @fft_rtc_fwd_len858_factors_13_11_6_wgs_234_tpt_78_halfLds_sp_ip_CI_unitstride_sbrr_C2R_dirReg
; %bb.0:
	s_load_dwordx2 s[2:3], s[4:5], 0x50
	s_load_dwordx4 s[8:11], s[4:5], 0x0
	s_load_dwordx2 s[12:13], s[4:5], 0x18
	v_mul_u32_u24_e32 v1, 0x349, v0
	v_lshrrev_b32_e32 v1, 16, v1
	v_mad_u64_u32 v[1:2], s[0:1], s6, 3, v[1:2]
	v_mov_b32_e32 v5, 0
	s_waitcnt lgkmcnt(0)
	v_cmp_lt_u64_e64 s[0:1], s[10:11], 2
	v_mov_b32_e32 v2, v5
	v_mov_b32_e32 v3, 0
	;; [unrolled: 1-line block ×3, first 2 shown]
	s_and_b64 vcc, exec, s[0:1]
	v_mov_b32_e32 v4, 0
	v_mov_b32_e32 v9, v1
	s_cbranch_vccnz .LBB0_8
; %bb.1:
	s_load_dwordx2 s[0:1], s[4:5], 0x10
	s_add_u32 s6, s12, 8
	s_addc_u32 s7, s13, 0
	v_mov_b32_e32 v3, 0
	v_mov_b32_e32 v8, v2
	s_waitcnt lgkmcnt(0)
	s_add_u32 s16, s0, 8
	s_mov_b64 s[14:15], 1
	v_mov_b32_e32 v4, 0
	s_addc_u32 s17, s1, 0
	v_mov_b32_e32 v7, v1
.LBB0_2:                                ; =>This Inner Loop Header: Depth=1
	s_load_dwordx2 s[18:19], s[16:17], 0x0
                                        ; implicit-def: $vgpr9_vgpr10
	s_waitcnt lgkmcnt(0)
	v_or_b32_e32 v6, s19, v8
	v_cmp_ne_u64_e32 vcc, 0, v[5:6]
	s_and_saveexec_b64 s[0:1], vcc
	s_xor_b64 s[20:21], exec, s[0:1]
	s_cbranch_execz .LBB0_4
; %bb.3:                                ;   in Loop: Header=BB0_2 Depth=1
	v_cvt_f32_u32_e32 v2, s18
	v_cvt_f32_u32_e32 v6, s19
	s_sub_u32 s0, 0, s18
	s_subb_u32 s1, 0, s19
	v_mac_f32_e32 v2, 0x4f800000, v6
	v_rcp_f32_e32 v2, v2
	v_mul_f32_e32 v2, 0x5f7ffffc, v2
	v_mul_f32_e32 v6, 0x2f800000, v2
	v_trunc_f32_e32 v6, v6
	v_mac_f32_e32 v2, 0xcf800000, v6
	v_cvt_u32_f32_e32 v6, v6
	v_cvt_u32_f32_e32 v2, v2
	v_mul_lo_u32 v9, s0, v6
	v_mul_hi_u32 v10, s0, v2
	v_mul_lo_u32 v12, s1, v2
	v_mul_lo_u32 v11, s0, v2
	v_add_u32_e32 v9, v10, v9
	v_add_u32_e32 v9, v9, v12
	v_mul_hi_u32 v10, v2, v11
	v_mul_lo_u32 v12, v2, v9
	v_mul_hi_u32 v14, v2, v9
	v_mul_hi_u32 v13, v6, v11
	v_mul_lo_u32 v11, v6, v11
	v_mul_hi_u32 v15, v6, v9
	v_add_co_u32_e32 v10, vcc, v10, v12
	v_addc_co_u32_e32 v12, vcc, 0, v14, vcc
	v_mul_lo_u32 v9, v6, v9
	v_add_co_u32_e32 v10, vcc, v10, v11
	v_addc_co_u32_e32 v10, vcc, v12, v13, vcc
	v_addc_co_u32_e32 v11, vcc, 0, v15, vcc
	v_add_co_u32_e32 v9, vcc, v10, v9
	v_addc_co_u32_e32 v10, vcc, 0, v11, vcc
	v_add_co_u32_e32 v2, vcc, v2, v9
	v_addc_co_u32_e32 v6, vcc, v6, v10, vcc
	v_mul_lo_u32 v9, s0, v6
	v_mul_hi_u32 v10, s0, v2
	v_mul_lo_u32 v11, s1, v2
	v_mul_lo_u32 v12, s0, v2
	v_add_u32_e32 v9, v10, v9
	v_add_u32_e32 v9, v9, v11
	v_mul_lo_u32 v13, v2, v9
	v_mul_hi_u32 v14, v2, v12
	v_mul_hi_u32 v15, v2, v9
	;; [unrolled: 1-line block ×3, first 2 shown]
	v_mul_lo_u32 v12, v6, v12
	v_mul_hi_u32 v10, v6, v9
	v_add_co_u32_e32 v13, vcc, v14, v13
	v_addc_co_u32_e32 v14, vcc, 0, v15, vcc
	v_mul_lo_u32 v9, v6, v9
	v_add_co_u32_e32 v12, vcc, v13, v12
	v_addc_co_u32_e32 v11, vcc, v14, v11, vcc
	v_addc_co_u32_e32 v10, vcc, 0, v10, vcc
	v_add_co_u32_e32 v9, vcc, v11, v9
	v_addc_co_u32_e32 v10, vcc, 0, v10, vcc
	v_add_co_u32_e32 v2, vcc, v2, v9
	v_addc_co_u32_e32 v6, vcc, v6, v10, vcc
	v_mad_u64_u32 v[9:10], s[0:1], v7, v6, 0
	v_mul_hi_u32 v11, v7, v2
	v_add_co_u32_e32 v13, vcc, v11, v9
	v_addc_co_u32_e32 v14, vcc, 0, v10, vcc
	v_mad_u64_u32 v[9:10], s[0:1], v8, v2, 0
	v_mad_u64_u32 v[11:12], s[0:1], v8, v6, 0
	v_add_co_u32_e32 v2, vcc, v13, v9
	v_addc_co_u32_e32 v2, vcc, v14, v10, vcc
	v_addc_co_u32_e32 v6, vcc, 0, v12, vcc
	v_add_co_u32_e32 v2, vcc, v2, v11
	v_addc_co_u32_e32 v6, vcc, 0, v6, vcc
	v_mul_lo_u32 v11, s19, v2
	v_mul_lo_u32 v12, s18, v6
	v_mad_u64_u32 v[9:10], s[0:1], s18, v2, 0
	v_add3_u32 v10, v10, v12, v11
	v_sub_u32_e32 v11, v8, v10
	v_mov_b32_e32 v12, s19
	v_sub_co_u32_e32 v9, vcc, v7, v9
	v_subb_co_u32_e64 v11, s[0:1], v11, v12, vcc
	v_subrev_co_u32_e64 v12, s[0:1], s18, v9
	v_subbrev_co_u32_e64 v11, s[0:1], 0, v11, s[0:1]
	v_cmp_le_u32_e64 s[0:1], s19, v11
	v_cndmask_b32_e64 v13, 0, -1, s[0:1]
	v_cmp_le_u32_e64 s[0:1], s18, v12
	v_cndmask_b32_e64 v12, 0, -1, s[0:1]
	v_cmp_eq_u32_e64 s[0:1], s19, v11
	v_cndmask_b32_e64 v11, v13, v12, s[0:1]
	v_add_co_u32_e64 v12, s[0:1], 2, v2
	v_addc_co_u32_e64 v13, s[0:1], 0, v6, s[0:1]
	v_add_co_u32_e64 v14, s[0:1], 1, v2
	v_addc_co_u32_e64 v15, s[0:1], 0, v6, s[0:1]
	v_subb_co_u32_e32 v10, vcc, v8, v10, vcc
	v_cmp_ne_u32_e64 s[0:1], 0, v11
	v_cmp_le_u32_e32 vcc, s19, v10
	v_cndmask_b32_e64 v11, v15, v13, s[0:1]
	v_cndmask_b32_e64 v13, 0, -1, vcc
	v_cmp_le_u32_e32 vcc, s18, v9
	v_cndmask_b32_e64 v9, 0, -1, vcc
	v_cmp_eq_u32_e32 vcc, s19, v10
	v_cndmask_b32_e32 v9, v13, v9, vcc
	v_cmp_ne_u32_e32 vcc, 0, v9
	v_cndmask_b32_e32 v10, v6, v11, vcc
	v_cndmask_b32_e64 v6, v14, v12, s[0:1]
	v_cndmask_b32_e32 v9, v2, v6, vcc
.LBB0_4:                                ;   in Loop: Header=BB0_2 Depth=1
	s_andn2_saveexec_b64 s[0:1], s[20:21]
	s_cbranch_execz .LBB0_6
; %bb.5:                                ;   in Loop: Header=BB0_2 Depth=1
	v_cvt_f32_u32_e32 v2, s18
	s_sub_i32 s20, 0, s18
	v_rcp_iflag_f32_e32 v2, v2
	v_mul_f32_e32 v2, 0x4f7ffffe, v2
	v_cvt_u32_f32_e32 v2, v2
	v_mul_lo_u32 v6, s20, v2
	v_mul_hi_u32 v6, v2, v6
	v_add_u32_e32 v2, v2, v6
	v_mul_hi_u32 v2, v7, v2
	v_mul_lo_u32 v6, v2, s18
	v_add_u32_e32 v9, 1, v2
	v_sub_u32_e32 v6, v7, v6
	v_subrev_u32_e32 v10, s18, v6
	v_cmp_le_u32_e32 vcc, s18, v6
	v_cndmask_b32_e32 v6, v6, v10, vcc
	v_cndmask_b32_e32 v2, v2, v9, vcc
	v_add_u32_e32 v9, 1, v2
	v_cmp_le_u32_e32 vcc, s18, v6
	v_cndmask_b32_e32 v9, v2, v9, vcc
	v_mov_b32_e32 v10, v5
.LBB0_6:                                ;   in Loop: Header=BB0_2 Depth=1
	s_or_b64 exec, exec, s[0:1]
	v_mul_lo_u32 v2, v10, s18
	v_mul_lo_u32 v6, v9, s19
	v_mad_u64_u32 v[11:12], s[0:1], v9, s18, 0
	s_load_dwordx2 s[0:1], s[6:7], 0x0
	s_add_u32 s14, s14, 1
	v_add3_u32 v2, v12, v6, v2
	v_sub_co_u32_e32 v6, vcc, v7, v11
	v_subb_co_u32_e32 v2, vcc, v8, v2, vcc
	s_waitcnt lgkmcnt(0)
	v_mul_lo_u32 v2, s0, v2
	v_mul_lo_u32 v7, s1, v6
	v_mad_u64_u32 v[3:4], s[0:1], s0, v6, v[3:4]
	s_addc_u32 s15, s15, 0
	s_add_u32 s6, s6, 8
	v_add3_u32 v4, v7, v4, v2
	v_mov_b32_e32 v6, s10
	v_mov_b32_e32 v7, s11
	s_addc_u32 s7, s7, 0
	v_cmp_ge_u64_e32 vcc, s[14:15], v[6:7]
	s_add_u32 s16, s16, 8
	s_addc_u32 s17, s17, 0
	s_cbranch_vccnz .LBB0_8
; %bb.7:                                ;   in Loop: Header=BB0_2 Depth=1
	v_mov_b32_e32 v7, v9
	v_mov_b32_e32 v8, v10
	s_branch .LBB0_2
.LBB0_8:
	s_lshl_b64 s[0:1], s[10:11], 3
	s_add_u32 s0, s12, s0
	s_addc_u32 s1, s13, s1
	s_load_dwordx2 s[0:1], s[0:1], 0x0
	s_mov_b32 s6, 0xaaaaaaab
	v_mul_hi_u32 v5, v1, s6
	s_waitcnt lgkmcnt(0)
	v_mul_lo_u32 v6, s0, v10
	v_mul_lo_u32 v7, s1, v9
	v_mad_u64_u32 v[2:3], s[0:1], s0, v9, v[3:4]
	s_load_dwordx2 s[0:1], s[4:5], 0x20
	s_mov_b32 s4, 0x3483484
	v_lshrrev_b32_e32 v4, 1, v5
	v_mul_hi_u32 v5, v0, s4
	v_lshl_add_u32 v4, v4, 1, v4
	v_add3_u32 v3, v7, v3, v6
	v_sub_u32_e32 v1, v1, v4
	v_mul_u32_u24_e32 v1, 0x35b, v1
	s_waitcnt lgkmcnt(0)
	v_cmp_gt_u64_e64 s[0:1], s[0:1], v[9:10]
	v_mul_u32_u24_e32 v4, 0x4e, v5
	v_lshlrev_b64 v[30:31], 3, v[2:3]
	v_sub_u32_e32 v28, v0, v4
	v_lshlrev_b32_e32 v33, 3, v1
	s_and_saveexec_b64 s[4:5], s[0:1]
	s_cbranch_execz .LBB0_12
; %bb.9:
	v_mov_b32_e32 v29, 0
	v_mov_b32_e32 v0, s3
	v_add_co_u32_e32 v2, vcc, s2, v30
	v_lshlrev_b64 v[3:4], 3, v[28:29]
	v_addc_co_u32_e32 v0, vcc, v0, v31, vcc
	v_add_co_u32_e32 v3, vcc, v2, v3
	v_addc_co_u32_e32 v4, vcc, v0, v4, vcc
	s_movk_i32 s6, 0x1000
	v_add_co_u32_e32 v13, vcc, s6, v3
	global_load_dwordx2 v[5:6], v[3:4], off
	global_load_dwordx2 v[7:8], v[3:4], off offset:624
	global_load_dwordx2 v[9:10], v[3:4], off offset:1248
	;; [unrolled: 1-line block ×3, first 2 shown]
	v_addc_co_u32_e32 v14, vcc, 0, v4, vcc
	global_load_dwordx2 v[15:16], v[3:4], off offset:2496
	global_load_dwordx2 v[17:18], v[3:4], off offset:3120
	;; [unrolled: 1-line block ×7, first 2 shown]
	v_lshlrev_b32_e32 v3, 3, v28
	s_movk_i32 s6, 0x4d
	v_add3_u32 v3, 0, v33, v3
	v_cmp_eq_u32_e32 vcc, s6, v28
	v_add_u32_e32 v4, 0x800, v3
	v_add_u32_e32 v13, 0xc00, v3
	;; [unrolled: 1-line block ×3, first 2 shown]
	s_waitcnt vmcnt(9)
	ds_write2_b64 v3, v[5:6], v[7:8] offset1:78
	s_waitcnt vmcnt(7)
	ds_write2_b64 v3, v[9:10], v[11:12] offset0:156 offset1:234
	s_waitcnt vmcnt(5)
	ds_write2_b64 v4, v[15:16], v[17:18] offset0:56 offset1:134
	;; [unrolled: 2-line block ×4, first 2 shown]
	s_waitcnt vmcnt(0)
	ds_write_b64 v3, v[34:35] offset:6240
	s_and_saveexec_b64 s[6:7], vcc
	s_cbranch_execz .LBB0_11
; %bb.10:
	v_add_co_u32_e32 v4, vcc, 0x1000, v2
	v_addc_co_u32_e32 v5, vcc, 0, v0, vcc
	global_load_dwordx2 v[4:5], v[4:5], off offset:2768
	v_mov_b32_e32 v28, 0x4d
	s_waitcnt vmcnt(0)
	ds_write_b64 v3, v[4:5] offset:6248
.LBB0_11:
	s_or_b64 exec, exec, s[6:7]
.LBB0_12:
	s_or_b64 exec, exec, s[4:5]
	v_lshl_add_u32 v32, v1, 3, 0
	v_lshlrev_b32_e32 v4, 3, v28
	v_add_u32_e32 v34, v32, v4
	s_waitcnt lgkmcnt(0)
	s_barrier
	v_sub_u32_e32 v5, v32, v4
	ds_read_b32 v6, v34
	ds_read_b32 v7, v5 offset:6864
	s_add_u32 s6, s8, 0x1a68
	s_addc_u32 s7, s9, 0
	v_cmp_ne_u32_e32 vcc, 0, v28
                                        ; implicit-def: $vgpr0_vgpr1
	s_waitcnt lgkmcnt(0)
	v_add_f32_e32 v2, v7, v6
	v_sub_f32_e32 v3, v6, v7
	s_and_saveexec_b64 s[4:5], vcc
	s_xor_b64 s[4:5], exec, s[4:5]
	s_cbranch_execz .LBB0_14
; %bb.13:
	v_mov_b32_e32 v29, 0
	v_lshlrev_b64 v[0:1], 3, v[28:29]
	v_mov_b32_e32 v2, s7
	v_add_co_u32_e32 v0, vcc, s6, v0
	v_addc_co_u32_e32 v1, vcc, v2, v1, vcc
	global_load_dwordx2 v[0:1], v[0:1], off
	ds_read_b32 v2, v5 offset:6868
	ds_read_b32 v3, v34 offset:4
	v_add_f32_e32 v8, v7, v6
	v_sub_f32_e32 v9, v6, v7
	s_waitcnt lgkmcnt(0)
	v_add_f32_e32 v10, v2, v3
	v_sub_f32_e32 v2, v3, v2
	s_waitcnt vmcnt(0)
	v_fma_f32 v11, v9, v1, v8
	v_fma_f32 v3, v10, v1, v2
	v_fma_f32 v6, -v9, v1, v8
	v_fma_f32 v7, v10, v1, -v2
	v_fma_f32 v2, -v0, v10, v11
	v_fmac_f32_e32 v3, v9, v0
	v_fmac_f32_e32 v6, v0, v10
	;; [unrolled: 1-line block ×3, first 2 shown]
	v_mov_b32_e32 v0, v28
	ds_write_b64 v5, v[6:7] offset:6864
	v_mov_b32_e32 v1, v29
.LBB0_14:
	s_andn2_saveexec_b64 s[4:5], s[4:5]
	s_cbranch_execz .LBB0_16
; %bb.15:
	ds_read_b64 v[0:1], v32 offset:3432
	s_waitcnt lgkmcnt(0)
	v_add_f32_e32 v6, v0, v0
	v_mul_f32_e32 v7, -2.0, v1
	v_mov_b32_e32 v0, 0
	v_mov_b32_e32 v1, 0
	ds_write_b64 v32, v[6:7] offset:3432
.LBB0_16:
	s_or_b64 exec, exec, s[4:5]
	v_lshlrev_b64 v[0:1], 3, v[0:1]
	v_mov_b32_e32 v6, s7
	v_add_co_u32_e32 v0, vcc, s6, v0
	v_addc_co_u32_e32 v1, vcc, v6, v1, vcc
	global_load_dwordx2 v[6:7], v[0:1], off offset:624
	global_load_dwordx2 v[8:9], v[0:1], off offset:1248
	;; [unrolled: 1-line block ×4, first 2 shown]
	ds_write_b64 v34, v[2:3]
	ds_read_b64 v[2:3], v34 offset:624
	ds_read_b64 v[14:15], v5 offset:6240
	v_cmp_gt_u32_e32 vcc, 39, v28
	s_waitcnt lgkmcnt(0)
	v_add_f32_e32 v16, v2, v14
	v_add_f32_e32 v17, v15, v3
	v_sub_f32_e32 v18, v2, v14
	v_sub_f32_e32 v14, v3, v15
	s_waitcnt vmcnt(3)
	v_fma_f32 v19, v18, v7, v16
	v_fma_f32 v15, v17, v7, v14
	v_fma_f32 v2, -v18, v7, v16
	v_fma_f32 v3, v17, v7, -v14
	v_fma_f32 v14, -v6, v17, v19
	v_fmac_f32_e32 v15, v18, v6
	v_fmac_f32_e32 v2, v6, v17
	v_fmac_f32_e32 v3, v18, v6
	ds_write_b64 v34, v[14:15] offset:624
	ds_write_b64 v5, v[2:3] offset:6240
	ds_read_b64 v[2:3], v34 offset:1248
	ds_read_b64 v[6:7], v5 offset:5616
	s_waitcnt lgkmcnt(0)
	v_add_f32_e32 v14, v2, v6
	v_add_f32_e32 v15, v7, v3
	v_sub_f32_e32 v16, v2, v6
	v_sub_f32_e32 v2, v3, v7
	s_waitcnt vmcnt(2)
	v_fma_f32 v17, v16, v9, v14
	v_fma_f32 v3, v15, v9, v2
	v_fma_f32 v6, -v16, v9, v14
	v_fma_f32 v7, v15, v9, -v2
	v_fma_f32 v2, -v8, v15, v17
	v_fmac_f32_e32 v3, v16, v8
	v_fmac_f32_e32 v6, v8, v15
	v_fmac_f32_e32 v7, v16, v8
	ds_write_b64 v34, v[2:3] offset:1248
	ds_write_b64 v5, v[6:7] offset:5616
	ds_read_b64 v[2:3], v34 offset:1872
	ds_read_b64 v[6:7], v5 offset:4992
	;; [unrolled: 18-line block ×3, first 2 shown]
	s_waitcnt lgkmcnt(0)
	v_add_f32_e32 v8, v2, v6
	v_add_f32_e32 v9, v7, v3
	v_sub_f32_e32 v10, v2, v6
	v_sub_f32_e32 v2, v3, v7
	s_waitcnt vmcnt(0)
	v_fma_f32 v11, v10, v13, v8
	v_fma_f32 v3, v9, v13, v2
	v_fma_f32 v6, -v10, v13, v8
	v_fma_f32 v7, v9, v13, -v2
	v_fma_f32 v2, -v12, v9, v11
	v_fmac_f32_e32 v3, v10, v12
	v_fmac_f32_e32 v6, v12, v9
	;; [unrolled: 1-line block ×3, first 2 shown]
	ds_write_b64 v34, v[2:3] offset:2496
	ds_write_b64 v5, v[6:7] offset:4368
	s_and_saveexec_b64 s[4:5], vcc
	s_cbranch_execz .LBB0_18
; %bb.17:
	global_load_dwordx2 v[0:1], v[0:1], off offset:3120
	ds_read_b64 v[2:3], v34 offset:3120
	ds_read_b64 v[6:7], v5 offset:3744
	s_waitcnt lgkmcnt(0)
	v_add_f32_e32 v8, v2, v6
	v_add_f32_e32 v9, v7, v3
	v_sub_f32_e32 v10, v2, v6
	v_sub_f32_e32 v3, v3, v7
	s_waitcnt vmcnt(0)
	v_fma_f32 v11, v10, v1, v8
	v_fma_f32 v2, v9, v1, v3
	v_fma_f32 v6, -v10, v1, v8
	v_fma_f32 v7, v9, v1, -v3
	v_fma_f32 v1, -v0, v9, v11
	v_fmac_f32_e32 v2, v10, v0
	v_fmac_f32_e32 v6, v0, v9
	;; [unrolled: 1-line block ×3, first 2 shown]
	ds_write_b64 v34, v[1:2] offset:3120
	ds_write_b64 v5, v[6:7] offset:3744
.LBB0_18:
	s_or_b64 exec, exec, s[4:5]
	v_add3_u32 v29, 0, v4, v33
	s_waitcnt lgkmcnt(0)
	s_barrier
	s_barrier
	ds_read2_b64 v[12:15], v29 offset0:66 offset1:132
	v_add_u32_e32 v0, 0x1400, v29
	ds_read2_b64 v[4:7], v0 offset0:86 offset1:152
	ds_read_b64 v[0:1], v34
	v_add_u32_e32 v35, 0x400, v29
	v_add_u32_e32 v37, 0x1000, v29
	ds_read2_b64 v[20:23], v35 offset0:70 offset1:136
	ds_read2_b64 v[8:11], v37 offset0:82 offset1:148
	s_waitcnt lgkmcnt(3)
	v_sub_f32_e32 v50, v13, v7
	v_mul_f32_e32 v54, 0xbf52af12, v50
	v_sub_f32_e32 v51, v15, v5
	v_add_f32_e32 v38, v6, v12
	v_mov_b32_e32 v2, v54
	v_mul_f32_e32 v57, 0xbf6f5d39, v51
	v_fmac_f32_e32 v2, 0x3f116cb1, v38
	v_add_f32_e32 v39, v4, v14
	v_mov_b32_e32 v3, v57
	v_sub_f32_e32 v53, v12, v6
	v_add_f32_e32 v40, v7, v13
	s_waitcnt lgkmcnt(2)
	v_add_f32_e32 v2, v0, v2
	v_fmac_f32_e32 v3, 0xbeb58ec6, v39
	s_mov_b32 s6, 0x3f116cb1
	v_mul_f32_e32 v61, 0xbf52af12, v53
	v_sub_f32_e32 v56, v14, v4
	v_add_f32_e32 v2, v3, v2
	v_fma_f32 v3, v40, s6, -v61
	s_mov_b32 s7, 0xbeb58ec6
	v_add_f32_e32 v42, v5, v15
	v_mul_f32_e32 v64, 0xbf6f5d39, v56
	s_waitcnt lgkmcnt(0)
	v_sub_f32_e32 v52, v21, v11
	v_add_f32_e32 v3, v1, v3
	v_fma_f32 v16, v42, s7, -v64
	v_mul_f32_e32 v60, 0xbe750f2a, v52
	v_add_f32_e32 v3, v16, v3
	v_add_f32_e32 v41, v10, v20
	v_mov_b32_e32 v16, v60
	v_sub_f32_e32 v58, v20, v10
	v_fmac_f32_e32 v16, 0xbf788fa5, v41
	s_mov_b32 s10, 0xbf788fa5
	v_add_f32_e32 v44, v11, v21
	v_mul_f32_e32 v68, 0xbe750f2a, v58
	v_sub_f32_e32 v55, v23, v9
	v_add_f32_e32 v2, v16, v2
	v_fma_f32 v16, v44, s10, -v68
	v_mul_f32_e32 v65, 0x3f29c268, v55
	v_add_f32_e32 v3, v16, v3
	v_add_f32_e32 v43, v8, v22
	v_mov_b32_e32 v16, v65
	v_fmac_f32_e32 v16, 0xbf3f9e67, v43
	v_add_f32_e32 v2, v16, v2
	v_add_u32_e32 v16, 0x800, v29
	v_add_u32_e32 v36, 0xc00, v29
	ds_read2_b64 v[24:27], v16 offset0:74 offset1:140
	ds_read2_b64 v[16:19], v36 offset0:78 offset1:144
	v_sub_f32_e32 v63, v22, v8
	s_mov_b32 s11, 0xbf3f9e67
	v_add_f32_e32 v46, v9, v23
	v_mul_f32_e32 v71, 0x3f29c268, v63
	s_waitcnt lgkmcnt(0)
	v_sub_f32_e32 v59, v25, v19
	v_fma_f32 v45, v46, s11, -v71
	v_mul_f32_e32 v69, 0x3f7e222b, v59
	v_add_f32_e32 v3, v45, v3
	v_add_f32_e32 v45, v18, v24
	v_mov_b32_e32 v47, v69
	v_sub_f32_e32 v67, v24, v18
	v_fmac_f32_e32 v47, 0x3df6dbef, v45
	s_mov_b32 s12, 0x3df6dbef
	v_add_f32_e32 v48, v19, v25
	v_mul_f32_e32 v73, 0x3f7e222b, v67
	v_sub_f32_e32 v62, v27, v17
	v_add_f32_e32 v2, v47, v2
	v_fma_f32 v47, v48, s12, -v73
	v_mul_f32_e32 v72, 0x3eedf032, v62
	v_sub_f32_e32 v66, v26, v16
	v_add_f32_e32 v3, v47, v3
	s_mov_b32 s13, 0x3f62ad3f
	v_add_f32_e32 v47, v16, v26
	v_mov_b32_e32 v70, v72
	v_add_f32_e32 v49, v17, v27
	v_mul_f32_e32 v74, 0x3eedf032, v66
	v_fmac_f32_e32 v70, 0x3f62ad3f, v47
	v_fma_f32 v75, v49, s13, -v74
	s_movk_i32 s4, 0x42
	v_add_f32_e32 v2, v70, v2
	v_add_f32_e32 v3, v75, v3
	v_cmp_gt_u32_e32 vcc, s4, v28
	s_barrier
	s_and_saveexec_b64 s[4:5], vcc
	s_cbranch_execz .LBB0_20
; %bb.19:
	v_mul_f32_e32 v70, 0xbe750f2a, v53
	v_mov_b32_e32 v75, v70
	v_add_f32_e32 v12, v0, v12
	v_mul_f32_e32 v76, 0x3eedf032, v56
	v_fmac_f32_e32 v75, 0xbf788fa5, v40
	v_add_f32_e32 v12, v12, v14
	v_mov_b32_e32 v14, v76
	v_add_f32_e32 v75, v1, v75
	v_fmac_f32_e32 v14, 0x3f62ad3f, v42
	v_add_f32_e32 v13, v1, v13
	v_add_f32_e32 v14, v14, v75
	v_mul_f32_e32 v75, 0xbf29c268, v58
	v_add_f32_e32 v13, v13, v15
	v_mov_b32_e32 v15, v75
	v_fmac_f32_e32 v15, 0xbf3f9e67, v44
	v_mul_f32_e32 v77, 0x3f52af12, v63
	v_add_f32_e32 v14, v15, v14
	v_mov_b32_e32 v15, v77
	v_fmac_f32_e32 v15, 0x3f116cb1, v46
	;; [unrolled: 4-line block ×3, first 2 shown]
	v_add_f32_e32 v13, v13, v21
	v_add_f32_e32 v12, v12, v20
	v_mul_f32_e32 v20, 0xbe750f2a, v50
	v_add_f32_e32 v14, v15, v14
	v_add_f32_e32 v13, v13, v23
	v_add_f32_e32 v12, v12, v22
	v_fma_f32 v15, v38, s10, -v20
	v_mul_f32_e32 v21, 0x3eedf032, v51
	v_add_f32_e32 v15, v0, v15
	v_fma_f32 v22, v39, s13, -v21
	v_add_f32_e32 v13, v13, v25
	v_add_f32_e32 v12, v12, v24
	v_mul_f32_e32 v25, 0xbf29c268, v52
	v_add_f32_e32 v15, v22, v15
	v_add_f32_e32 v24, v12, v26
	v_fma_f32 v12, v41, s11, -v25
	v_mul_f32_e32 v26, 0x3f52af12, v55
	v_add_f32_e32 v23, v13, v27
	v_add_f32_e32 v12, v12, v15
	v_fma_f32 v13, v43, s6, -v26
	v_mul_f32_e32 v27, 0xbf6f5d39, v59
	v_mul_f32_e32 v22, 0x3f7e222b, v66
	v_add_f32_e32 v12, v13, v12
	v_fma_f32 v13, v45, s7, -v27
	v_add_f32_e32 v12, v13, v12
	v_mov_b32_e32 v13, v22
	v_fmac_f32_e32 v13, 0x3df6dbef, v49
	v_mul_f32_e32 v79, 0x3f7e222b, v62
	v_add_f32_e32 v13, v13, v14
	v_fma_f32 v14, v47, s12, -v79
	v_add_f32_e32 v15, v24, v16
	v_add_f32_e32 v12, v14, v12
	;; [unrolled: 1-line block ×9, first 2 shown]
	v_mul_f32_e32 v83, 0xbf29c268, v50
	v_add_f32_e32 v4, v8, v4
	v_add_f32_e32 v5, v9, v5
	v_add_f32_e32 v4, v4, v6
	v_fma_f32 v6, v38, s11, -v83
	v_mul_f32_e32 v84, 0x3f7e222b, v51
	v_add_f32_e32 v5, v5, v7
	v_add_f32_e32 v6, v0, v6
	v_fma_f32 v7, v39, s12, -v84
	v_mul_f32_e32 v85, 0xbf52af12, v52
	v_add_f32_e32 v6, v7, v6
	v_fma_f32 v7, v41, s6, -v85
	v_mul_f32_e32 v86, 0x3e750f2a, v55
	;; [unrolled: 3-line block ×5, first 2 shown]
	v_add_f32_e32 v6, v8, v6
	v_mov_b32_e32 v8, v90
	v_mul_f32_e32 v91, 0x3f29c268, v56
	v_mul_f32_e32 v23, 0xbf29c268, v53
	v_fmac_f32_e32 v8, 0xbeb58ec6, v40
	v_mov_b32_e32 v9, v91
	v_mov_b32_e32 v16, v23
	v_mul_f32_e32 v24, 0x3f7e222b, v56
	v_add_f32_e32 v8, v1, v8
	v_fmac_f32_e32 v9, 0xbf3f9e67, v42
	v_mul_f32_e32 v92, 0x3eedf032, v58
	v_fmac_f32_e32 v16, 0xbf3f9e67, v40
	v_mov_b32_e32 v17, v24
	v_add_f32_e32 v8, v9, v8
	v_mov_b32_e32 v9, v92
	v_add_f32_e32 v16, v1, v16
	v_fmac_f32_e32 v17, 0x3df6dbef, v42
	v_mul_f32_e32 v80, 0xbf52af12, v58
	v_fmac_f32_e32 v9, 0x3f62ad3f, v44
	v_mul_f32_e32 v93, 0xbf7e222b, v63
	v_add_f32_e32 v16, v17, v16
	v_mov_b32_e32 v17, v80
	v_mul_f32_e32 v81, 0x3e750f2a, v63
	v_add_f32_e32 v8, v9, v8
	v_mov_b32_e32 v9, v93
	v_fmac_f32_e32 v17, 0x3f116cb1, v44
	v_mov_b32_e32 v10, v81
	v_mul_f32_e32 v82, 0x3eedf032, v67
	v_fmac_f32_e32 v9, 0x3df6dbef, v46
	v_mul_f32_e32 v94, 0x3e750f2a, v67
	v_add_f32_e32 v16, v17, v16
	v_fmac_f32_e32 v10, 0xbf788fa5, v46
	v_mov_b32_e32 v11, v82
	v_mul_f32_e32 v88, 0xbf6f5d39, v66
	v_add_f32_e32 v8, v9, v8
	v_mov_b32_e32 v9, v94
	v_add_f32_e32 v10, v10, v16
	v_fmac_f32_e32 v11, 0x3f62ad3f, v48
	v_mov_b32_e32 v7, v88
	v_fmac_f32_e32 v9, 0xbf788fa5, v48
	v_mul_f32_e32 v95, 0xbf6f5d39, v50
	v_add_f32_e32 v10, v11, v10
	v_fmac_f32_e32 v7, 0xbeb58ec6, v49
	v_add_f32_e32 v8, v9, v8
	v_fma_f32 v9, v38, s7, -v95
	v_mul_f32_e32 v96, 0x3f29c268, v51
	v_add_f32_e32 v7, v7, v10
	v_add_f32_e32 v9, v0, v9
	v_fma_f32 v10, v39, s11, -v96
	v_mul_f32_e32 v97, 0x3eedf032, v52
	v_add_f32_e32 v9, v10, v9
	v_fma_f32 v10, v41, s13, -v97
	v_mul_f32_e32 v98, 0xbf7e222b, v55
	v_add_f32_e32 v9, v10, v9
	v_fma_f32 v10, v43, s12, -v98
	v_mul_f32_e32 v99, 0x3e750f2a, v59
	v_add_f32_e32 v9, v10, v9
	v_fma_f32 v10, v45, s10, -v99
	v_mul_f32_e32 v100, 0x3f52af12, v66
	v_add_f32_e32 v10, v10, v9
	v_mov_b32_e32 v9, v100
	v_fmac_f32_e32 v9, 0x3f116cb1, v49
	v_mul_f32_e32 v101, 0x3f52af12, v62
	v_add_f32_e32 v9, v9, v8
	v_fma_f32 v8, v47, s6, -v101
	v_mul_f32_e32 v102, 0xbf7e222b, v53
	v_add_f32_e32 v8, v8, v10
	v_mov_b32_e32 v10, v102
	v_mul_f32_e32 v103, 0xbe750f2a, v56
	v_fmac_f32_e32 v10, 0x3df6dbef, v40
	v_mov_b32_e32 v11, v103
	v_add_f32_e32 v10, v1, v10
	v_fmac_f32_e32 v11, 0xbf788fa5, v42
	v_mul_f32_e32 v104, 0x3f6f5d39, v58
	v_add_f32_e32 v10, v11, v10
	v_mov_b32_e32 v11, v104
	v_fmac_f32_e32 v11, 0xbeb58ec6, v44
	v_mul_f32_e32 v105, 0x3eedf032, v63
	v_add_f32_e32 v10, v11, v10
	v_mov_b32_e32 v11, v105
	;; [unrolled: 4-line block ×3, first 2 shown]
	v_fmac_f32_e32 v11, 0x3f116cb1, v48
	v_mul_f32_e32 v107, 0xbf7e222b, v50
	v_add_f32_e32 v10, v11, v10
	v_fma_f32 v11, v38, s12, -v107
	v_mul_f32_e32 v108, 0xbe750f2a, v51
	v_add_f32_e32 v11, v0, v11
	v_fma_f32 v14, v39, s10, -v108
	;; [unrolled: 3-line block ×5, first 2 shown]
	v_mul_f32_e32 v112, 0xbf29c268, v66
	v_add_f32_e32 v14, v14, v11
	v_mov_b32_e32 v11, v112
	v_fmac_f32_e32 v11, 0xbf3f9e67, v49
	v_mul_f32_e32 v113, 0xbf29c268, v62
	v_add_f32_e32 v11, v11, v10
	v_fma_f32 v10, v47, s11, -v113
	v_add_f32_e32 v10, v10, v14
	v_mul_f32_e32 v14, 0x3f116cb1, v40
	v_mul_f32_e32 v16, 0x3f116cb1, v38
	v_add_f32_e32 v14, v61, v14
	v_mul_f32_e32 v15, 0xbeb58ec6, v42
	v_sub_f32_e32 v16, v16, v54
	v_mul_f32_e32 v17, 0xbeb58ec6, v39
	v_add_f32_e32 v15, v64, v15
	v_add_f32_e32 v14, v1, v14
	v_sub_f32_e32 v17, v17, v57
	v_add_f32_e32 v16, v0, v16
	v_add_f32_e32 v14, v15, v14
	v_mul_f32_e32 v15, 0xbf788fa5, v44
	v_add_f32_e32 v16, v17, v16
	v_mul_f32_e32 v17, 0xbf788fa5, v41
	v_add_f32_e32 v15, v68, v15
	v_sub_f32_e32 v17, v17, v60
	v_add_f32_e32 v14, v15, v14
	v_mul_f32_e32 v15, 0xbf3f9e67, v46
	v_add_f32_e32 v16, v17, v16
	v_mul_f32_e32 v17, 0xbf3f9e67, v43
	v_add_f32_e32 v15, v71, v15
	v_sub_f32_e32 v17, v17, v65
	;; [unrolled: 6-line block ×4, first 2 shown]
	v_mul_f32_e32 v53, 0xbeedf032, v53
	v_add_f32_e32 v15, v15, v14
	v_add_f32_e32 v14, v17, v16
	v_mov_b32_e32 v16, v53
	v_mul_f32_e32 v54, 0xbf52af12, v56
	v_fmac_f32_e32 v16, 0x3f62ad3f, v40
	v_mov_b32_e32 v17, v54
	v_add_f32_e32 v16, v1, v16
	v_fmac_f32_e32 v17, 0x3f116cb1, v42
	v_mul_f32_e32 v56, 0xbf7e222b, v58
	v_add_f32_e32 v16, v17, v16
	v_mov_b32_e32 v17, v56
	v_fmac_f32_e32 v17, 0x3df6dbef, v44
	v_mul_f32_e32 v57, 0xbf6f5d39, v63
	v_add_f32_e32 v16, v17, v16
	v_mov_b32_e32 v17, v57
	;; [unrolled: 4-line block ×3, first 2 shown]
	v_fmac_f32_e32 v17, 0xbf3f9e67, v48
	v_mul_f32_e32 v50, 0xbeedf032, v50
	v_add_f32_e32 v16, v17, v16
	v_fma_f32 v17, v38, s13, -v50
	v_mul_f32_e32 v51, 0xbf52af12, v51
	v_add_f32_e32 v17, v0, v17
	v_fma_f32 v18, v39, s6, -v51
	v_mul_f32_e32 v52, 0xbf7e222b, v52
	v_add_f32_e32 v17, v18, v17
	v_fma_f32 v18, v41, s12, -v52
	v_mul_f32_e32 v55, 0xbf6f5d39, v55
	v_add_f32_e32 v17, v18, v17
	v_fma_f32 v18, v43, s7, -v55
	v_mul_f32_e32 v59, 0xbf29c268, v59
	v_add_f32_e32 v17, v18, v17
	v_fma_f32 v18, v45, s11, -v59
	v_mul_f32_e32 v60, 0xbe750f2a, v66
	v_add_f32_e32 v18, v18, v17
	v_mov_b32_e32 v17, v60
	v_fmac_f32_e32 v17, 0xbf788fa5, v49
	v_mul_f32_e32 v61, 0xbe750f2a, v62
	v_add_f32_e32 v17, v17, v16
	v_fma_f32 v16, v47, s10, -v61
	v_add_f32_e32 v16, v16, v18
	v_fma_f32 v18, v40, s10, -v70
	;; [unrolled: 2-line block ×6, first 2 shown]
	v_fmac_f32_e32 v20, 0xbf788fa5, v38
	v_add_f32_e32 v18, v19, v18
	v_add_f32_e32 v19, v0, v20
	v_fmac_f32_e32 v21, 0x3f62ad3f, v39
	v_add_f32_e32 v19, v21, v19
	v_fmac_f32_e32 v25, 0xbf3f9e67, v41
	;; [unrolled: 2-line block ×4, first 2 shown]
	v_add_f32_e32 v20, v27, v19
	v_fma_f32 v19, v49, s12, -v22
	v_fmac_f32_e32 v79, 0x3df6dbef, v47
	v_add_f32_e32 v19, v19, v18
	v_add_f32_e32 v18, v79, v20
	v_fma_f32 v20, v40, s11, -v23
	v_add_f32_e32 v20, v1, v20
	v_fma_f32 v21, v42, s12, -v24
	;; [unrolled: 2-line block ×5, first 2 shown]
	v_fmac_f32_e32 v83, 0xbf3f9e67, v38
	v_add_f32_e32 v20, v21, v20
	v_add_f32_e32 v21, v0, v83
	v_fmac_f32_e32 v84, 0x3df6dbef, v39
	v_add_f32_e32 v21, v84, v21
	v_fmac_f32_e32 v85, 0x3f116cb1, v41
	;; [unrolled: 2-line block ×4, first 2 shown]
	v_add_f32_e32 v22, v87, v21
	v_fma_f32 v21, v49, s7, -v88
	v_fmac_f32_e32 v89, 0xbeb58ec6, v47
	v_add_f32_e32 v21, v21, v20
	v_add_f32_e32 v20, v89, v22
	v_fma_f32 v22, v40, s7, -v90
	v_fma_f32 v24, v40, s12, -v102
	v_add_f32_e32 v22, v1, v22
	v_fma_f32 v23, v42, s11, -v91
	v_add_f32_e32 v24, v1, v24
	;; [unrolled: 2-line block ×6, first 2 shown]
	v_fma_f32 v25, v46, s13, -v105
	v_fma_f32 v26, v40, s13, -v53
	v_add_f32_e32 v22, v23, v22
	v_fma_f32 v23, v48, s10, -v94
	v_add_f32_e32 v24, v25, v24
	;; [unrolled: 2-line block ×4, first 2 shown]
	v_fma_f32 v23, v49, s6, -v100
	v_fmac_f32_e32 v95, 0xbeb58ec6, v38
	v_add_f32_e32 v24, v25, v24
	v_fma_f32 v25, v49, s11, -v112
	v_fmac_f32_e32 v107, 0x3df6dbef, v38
	v_add_f32_e32 v1, v26, v1
	;; [unrolled: 3-line block ×3, first 2 shown]
	v_add_f32_e32 v22, v0, v95
	v_fmac_f32_e32 v96, 0xbf3f9e67, v39
	v_add_f32_e32 v25, v25, v24
	v_add_f32_e32 v24, v0, v107
	v_fmac_f32_e32 v108, 0xbf788fa5, v39
	v_add_f32_e32 v1, v26, v1
	v_fma_f32 v26, v46, s7, -v57
	v_add_f32_e32 v0, v0, v50
	v_fmac_f32_e32 v51, 0x3f116cb1, v39
	v_add_f32_e32 v22, v96, v22
	v_fmac_f32_e32 v97, 0x3f62ad3f, v41
	v_add_f32_e32 v24, v108, v24
	v_fmac_f32_e32 v109, 0xbeb58ec6, v41
	v_add_f32_e32 v1, v26, v1
	v_fma_f32 v26, v48, s11, -v58
	v_add_f32_e32 v0, v51, v0
	v_fmac_f32_e32 v52, 0x3df6dbef, v41
	v_add_f32_e32 v22, v97, v22
	v_fmac_f32_e32 v98, 0x3df6dbef, v43
	;; [unrolled: 8-line block ×3, first 2 shown]
	v_add_f32_e32 v24, v110, v24
	v_fmac_f32_e32 v111, 0x3f116cb1, v45
	v_add_f32_e32 v1, v26, v1
	v_add_f32_e32 v0, v55, v0
	v_fmac_f32_e32 v59, 0xbf3f9e67, v45
	v_mul_u32_u24_e32 v26, 0x68, v28
	v_add_f32_e32 v22, v99, v22
	v_fmac_f32_e32 v101, 0x3f116cb1, v47
	v_add_f32_e32 v24, v111, v24
	v_fmac_f32_e32 v113, 0xbf3f9e67, v47
	;; [unrolled: 2-line block ×3, first 2 shown]
	v_add3_u32 v26, 0, v26, v33
	v_add_f32_e32 v22, v101, v22
	v_add_f32_e32 v24, v113, v24
	;; [unrolled: 1-line block ×3, first 2 shown]
	ds_write2_b64 v26, v[4:5], v[16:17] offset1:1
	ds_write2_b64 v26, v[14:15], v[10:11] offset0:2 offset1:3
	ds_write2_b64 v26, v[8:9], v[6:7] offset0:4 offset1:5
	;; [unrolled: 1-line block ×5, first 2 shown]
	ds_write_b64 v26, v[0:1] offset:96
.LBB0_20:
	s_or_b64 exec, exec, s[4:5]
	s_movk_i32 s4, 0x4f
	v_mul_lo_u16_sdwa v0, v28, s4 dst_sel:DWORD dst_unused:UNUSED_PAD src0_sel:BYTE_0 src1_sel:DWORD
	v_lshrrev_b16_e32 v54, 10, v0
	v_mul_lo_u16_e32 v0, 13, v54
	v_sub_u16_e32 v55, v28, v0
	v_mov_b32_e32 v0, 10
	v_mul_u32_u24_sdwa v0, v55, v0 dst_sel:DWORD dst_unused:UNUSED_PAD src0_sel:BYTE_0 src1_sel:DWORD
	v_lshlrev_b32_e32 v0, 3, v0
	s_waitcnt lgkmcnt(0)
	s_barrier
	global_load_dwordx4 v[4:7], v0, s[8:9]
	global_load_dwordx4 v[8:11], v0, s[8:9] offset:16
	global_load_dwordx4 v[12:15], v0, s[8:9] offset:32
	;; [unrolled: 1-line block ×4, first 2 shown]
	ds_read2_b64 v[24:27], v29 offset0:78 offset1:156
	ds_read2_b64 v[38:41], v35 offset0:106 offset1:184
	ds_read2_b32 v[0:1], v36 offset0:12 offset1:13
	ds_read2_b64 v[42:45], v36 offset0:84 offset1:162
	ds_read2_b64 v[46:49], v37 offset0:112 offset1:190
	ds_read_b64 v[50:51], v34
	ds_read_b64 v[52:53], v29 offset:6240
	s_mov_b32 s4, 0x3f575c64
	s_mov_b32 s5, 0x3ed4b147
	;; [unrolled: 1-line block ×5, first 2 shown]
	s_waitcnt vmcnt(0) lgkmcnt(0)
	s_barrier
	v_mul_f32_e32 v37, v5, v25
	v_mul_f32_e32 v5, v5, v24
	;; [unrolled: 1-line block ×10, first 2 shown]
	v_fma_f32 v24, v4, v24, -v37
	v_fmac_f32_e32 v5, v4, v25
	v_mul_f32_e32 v57, v9, v39
	v_mul_f32_e32 v9, v9, v38
	v_fma_f32 v4, v6, v26, -v56
	v_fmac_f32_e32 v7, v6, v27
	v_fmac_f32_e32 v60, v1, v12
	v_fma_f32 v1, v42, v14, -v13
	v_fmac_f32_e32 v15, v43, v14
	v_fma_f32 v14, v46, v18, -v62
	v_fmac_f32_e32 v19, v47, v18
	v_add_f32_e32 v13, v24, v50
	v_add_f32_e32 v18, v5, v51
	v_mul_f32_e32 v58, v11, v41
	v_mul_f32_e32 v11, v11, v40
	v_fma_f32 v6, v8, v38, -v57
	v_fmac_f32_e32 v9, v8, v39
	v_add_f32_e32 v13, v13, v4
	v_add_f32_e32 v18, v18, v7
	v_fma_f32 v8, v10, v40, -v58
	v_fmac_f32_e32 v11, v10, v41
	v_add_f32_e32 v13, v13, v6
	v_add_f32_e32 v18, v18, v9
	v_fma_f32 v0, v12, v0, -v59
	v_add_f32_e32 v13, v13, v8
	v_add_f32_e32 v18, v18, v11
	v_mul_f32_e32 v61, v45, v17
	v_mul_f32_e32 v17, v44, v17
	v_add_f32_e32 v13, v13, v0
	v_add_f32_e32 v18, v18, v60
	v_fma_f32 v10, v44, v16, -v61
	v_fmac_f32_e32 v17, v45, v16
	v_add_f32_e32 v13, v13, v1
	v_add_f32_e32 v18, v18, v15
	v_mul_f32_e32 v63, v49, v21
	v_mul_f32_e32 v21, v48, v21
	;; [unrolled: 1-line block ×4, first 2 shown]
	v_add_f32_e32 v13, v13, v10
	v_add_f32_e32 v18, v18, v17
	v_fma_f32 v16, v48, v20, -v63
	v_fmac_f32_e32 v21, v49, v20
	v_fma_f32 v12, v52, v22, -v64
	v_fmac_f32_e32 v23, v53, v22
	v_add_f32_e32 v13, v13, v14
	v_add_f32_e32 v18, v18, v19
	;; [unrolled: 1-line block ×4, first 2 shown]
	v_sub_f32_e32 v24, v24, v12
	v_sub_f32_e32 v5, v5, v23
	v_add_f32_e32 v13, v13, v16
	v_add_f32_e32 v18, v18, v21
	v_mul_f32_e32 v25, 0xbf0a6770, v5
	v_mul_f32_e32 v26, 0xbf0a6770, v24
	v_add_f32_e32 v12, v13, v12
	v_add_f32_e32 v13, v18, v23
	v_mul_f32_e32 v18, 0xbf68dda4, v5
	v_mul_f32_e32 v38, 0xbf68dda4, v24
	;; [unrolled: 1-line block ×8, first 2 shown]
	v_fma_f32 v27, v20, s4, -v25
	v_mov_b32_e32 v37, v26
	v_fmac_f32_e32 v25, 0x3f575c64, v20
	v_fma_f32 v23, v20, s5, -v18
	v_mov_b32_e32 v39, v38
	v_fmac_f32_e32 v18, 0x3ed4b147, v20
	v_fma_f32 v41, v20, s6, -v40
	v_mov_b32_e32 v43, v42
	v_fmac_f32_e32 v40, 0xbe11bafb, v20
	v_fma_f32 v45, v20, s7, -v44
	v_mov_b32_e32 v47, v46
	v_fmac_f32_e32 v44, 0xbf27a4f4, v20
	v_fma_f32 v48, v20, s10, -v5
	v_mov_b32_e32 v49, v24
	v_fmac_f32_e32 v5, 0xbf75a155, v20
	v_fma_f32 v20, v22, s10, -v24
	v_add_f32_e32 v24, v7, v21
	v_sub_f32_e32 v7, v7, v21
	v_fma_f32 v26, v22, s4, -v26
	v_fmac_f32_e32 v37, 0x3f575c64, v22
	v_fmac_f32_e32 v39, 0x3ed4b147, v22
	v_fma_f32 v38, v22, s5, -v38
	v_fmac_f32_e32 v43, 0xbe11bafb, v22
	v_fma_f32 v42, v22, s6, -v42
	;; [unrolled: 2-line block ×3, first 2 shown]
	v_fmac_f32_e32 v49, 0xbf75a155, v22
	v_add_f32_e32 v22, v4, v16
	v_sub_f32_e32 v4, v4, v16
	v_mul_f32_e32 v16, 0xbf68dda4, v7
	v_add_f32_e32 v27, v27, v50
	v_fma_f32 v21, v22, s5, -v16
	v_add_f32_e32 v25, v25, v50
	v_add_f32_e32 v21, v21, v27
	v_mul_f32_e32 v27, 0xbf68dda4, v4
	v_fmac_f32_e32 v16, 0x3ed4b147, v22
	v_add_f32_e32 v26, v26, v51
	v_add_f32_e32 v16, v16, v25
	v_fma_f32 v25, v24, s5, -v27
	v_add_f32_e32 v25, v25, v26
	v_mul_f32_e32 v26, 0xbf4178ce, v7
	v_add_f32_e32 v23, v23, v50
	v_add_f32_e32 v18, v18, v50
	;; [unrolled: 1-line block ×8, first 2 shown]
	v_mov_b32_e32 v50, v27
	v_fma_f32 v27, v22, s7, -v26
	v_add_f32_e32 v37, v37, v51
	v_fmac_f32_e32 v50, 0x3ed4b147, v24
	v_add_f32_e32 v23, v27, v23
	v_mul_f32_e32 v27, 0xbf4178ce, v4
	v_fmac_f32_e32 v26, 0xbf27a4f4, v22
	v_add_f32_e32 v38, v38, v51
	v_add_f32_e32 v37, v50, v37
	v_mov_b32_e32 v50, v27
	v_add_f32_e32 v18, v26, v18
	v_fma_f32 v26, v24, s7, -v27
	v_mul_f32_e32 v27, 0x3e903f40, v7
	v_add_f32_e32 v26, v26, v38
	v_fma_f32 v38, v22, s10, -v27
	v_add_f32_e32 v39, v39, v51
	v_fmac_f32_e32 v50, 0xbf27a4f4, v24
	v_add_f32_e32 v38, v38, v41
	v_mul_f32_e32 v41, 0x3e903f40, v4
	v_fmac_f32_e32 v27, 0xbf75a155, v22
	v_add_f32_e32 v42, v42, v51
	v_add_f32_e32 v39, v50, v39
	v_mov_b32_e32 v50, v41
	v_add_f32_e32 v27, v27, v40
	v_fma_f32 v40, v24, s10, -v41
	v_mul_f32_e32 v41, 0x3f7d64f0, v7
	v_add_f32_e32 v40, v40, v42
	v_fma_f32 v42, v22, s6, -v41
	v_add_f32_e32 v42, v42, v45
	v_mul_f32_e32 v45, 0x3f7d64f0, v4
	v_fmac_f32_e32 v41, 0xbe11bafb, v22
	v_add_f32_e32 v46, v46, v51
	v_add_f32_e32 v41, v41, v44
	v_fma_f32 v44, v24, s6, -v45
	v_mul_f32_e32 v4, 0x3f0a6770, v4
	v_add_f32_e32 v43, v43, v51
	v_add_f32_e32 v20, v20, v51
	v_fmac_f32_e32 v50, 0xbf75a155, v24
	v_add_f32_e32 v44, v44, v46
	v_mul_f32_e32 v7, 0x3f0a6770, v7
	v_mov_b32_e32 v46, v4
	v_fma_f32 v4, v24, s4, -v4
	v_add_f32_e32 v43, v50, v43
	v_mov_b32_e32 v50, v45
	v_fma_f32 v45, v22, s4, -v7
	v_fmac_f32_e32 v7, 0x3f575c64, v22
	v_add_f32_e32 v4, v4, v20
	v_add_f32_e32 v20, v9, v19
	v_sub_f32_e32 v9, v9, v19
	v_add_f32_e32 v5, v7, v5
	v_add_f32_e32 v7, v6, v14
	v_sub_f32_e32 v6, v6, v14
	v_mul_f32_e32 v14, 0xbf7d64f0, v9
	v_fma_f32 v19, v7, s6, -v14
	v_add_f32_e32 v19, v19, v21
	v_mul_f32_e32 v21, 0xbf7d64f0, v6
	v_fmac_f32_e32 v14, 0xbe11bafb, v7
	v_mov_b32_e32 v22, v21
	v_add_f32_e32 v14, v14, v16
	v_fma_f32 v16, v20, s6, -v21
	v_mul_f32_e32 v21, 0x3e903f40, v9
	v_fmac_f32_e32 v50, 0xbe11bafb, v24
	v_fmac_f32_e32 v46, 0x3f575c64, v24
	v_fma_f32 v24, v7, s10, -v21
	v_add_f32_e32 v23, v24, v23
	v_mul_f32_e32 v24, 0x3e903f40, v6
	v_fmac_f32_e32 v21, 0xbf75a155, v7
	v_fmac_f32_e32 v22, 0xbe11bafb, v20
	v_add_f32_e32 v16, v16, v25
	v_mov_b32_e32 v25, v24
	v_add_f32_e32 v18, v21, v18
	v_fma_f32 v21, v20, s10, -v24
	v_mul_f32_e32 v24, 0x3f68dda4, v9
	v_add_f32_e32 v22, v22, v37
	v_add_f32_e32 v21, v21, v26
	v_fma_f32 v26, v7, s5, -v24
	v_mul_f32_e32 v37, 0x3f68dda4, v6
	v_fmac_f32_e32 v24, 0x3ed4b147, v7
	v_fmac_f32_e32 v25, 0xbf75a155, v20
	v_add_f32_e32 v26, v26, v38
	v_mov_b32_e32 v38, v37
	v_add_f32_e32 v24, v24, v27
	v_fma_f32 v27, v20, s5, -v37
	v_mul_f32_e32 v37, 0xbf0a6770, v9
	v_add_f32_e32 v25, v25, v39
	v_fma_f32 v39, v7, s4, -v37
	v_fmac_f32_e32 v37, 0x3f575c64, v7
	v_mul_f32_e32 v9, 0xbf4178ce, v9
	v_fmac_f32_e32 v38, 0x3ed4b147, v20
	v_add_f32_e32 v27, v27, v40
	v_mul_f32_e32 v40, 0xbf0a6770, v6
	v_add_f32_e32 v37, v37, v41
	v_fma_f32 v41, v7, s7, -v9
	v_mul_f32_e32 v6, 0xbf4178ce, v6
	v_fmac_f32_e32 v9, 0xbf27a4f4, v7
	v_add_f32_e32 v38, v38, v43
	v_mov_b32_e32 v43, v6
	v_add_f32_e32 v5, v9, v5
	v_fma_f32 v6, v20, s7, -v6
	v_sub_f32_e32 v9, v11, v17
	v_add_f32_e32 v4, v6, v4
	v_add_f32_e32 v6, v8, v10
	v_sub_f32_e32 v8, v8, v10
	v_mul_f32_e32 v10, 0xbf4178ce, v9
	v_add_f32_e32 v7, v11, v17
	v_fma_f32 v11, v6, s7, -v10
	v_mul_f32_e32 v17, 0xbf4178ce, v8
	v_fmac_f32_e32 v10, 0xbf27a4f4, v6
	v_add_f32_e32 v10, v10, v14
	v_fma_f32 v14, v7, s7, -v17
	v_add_f32_e32 v39, v39, v42
	v_mov_b32_e32 v42, v40
	v_add_f32_e32 v16, v14, v16
	v_mul_f32_e32 v14, 0x3f7d64f0, v9
	v_fmac_f32_e32 v42, 0x3f575c64, v20
	v_fma_f32 v40, v20, s4, -v40
	v_fmac_f32_e32 v43, 0xbf27a4f4, v20
	v_add_f32_e32 v11, v11, v19
	v_mov_b32_e32 v19, v17
	v_fma_f32 v17, v6, s6, -v14
	v_mul_f32_e32 v20, 0x3f7d64f0, v8
	v_fmac_f32_e32 v14, 0xbe11bafb, v6
	v_fmac_f32_e32 v19, 0xbf27a4f4, v7
	v_add_f32_e32 v18, v14, v18
	v_fma_f32 v14, v7, s6, -v20
	v_add_f32_e32 v19, v19, v22
	v_mov_b32_e32 v22, v20
	v_add_f32_e32 v20, v14, v21
	v_mul_f32_e32 v14, 0xbf0a6770, v9
	v_add_f32_e32 v17, v17, v23
	v_fma_f32 v21, v6, s4, -v14
	v_mul_f32_e32 v23, 0xbf0a6770, v8
	v_fmac_f32_e32 v14, 0x3f575c64, v6
	v_fmac_f32_e32 v22, 0xbe11bafb, v7
	v_add_f32_e32 v24, v14, v24
	v_fma_f32 v14, v7, s4, -v23
	v_add_f32_e32 v22, v22, v25
	v_mov_b32_e32 v25, v23
	v_add_f32_e32 v23, v14, v27
	v_mul_f32_e32 v14, 0xbe903f40, v9
	v_add_f32_e32 v21, v21, v26
	v_fma_f32 v26, v6, s10, -v14
	v_mul_f32_e32 v27, 0xbe903f40, v8
	v_fmac_f32_e32 v14, 0xbf75a155, v6
	v_add_f32_e32 v45, v45, v48
	v_add_f32_e32 v40, v40, v44
	v_fmac_f32_e32 v25, 0x3f575c64, v7
	v_add_f32_e32 v37, v14, v37
	v_fma_f32 v14, v7, s10, -v27
	v_mul_f32_e32 v9, 0x3f68dda4, v9
	v_add_f32_e32 v49, v49, v51
	v_add_f32_e32 v41, v41, v45
	;; [unrolled: 1-line block ×3, first 2 shown]
	v_mov_b32_e32 v38, v27
	v_add_f32_e32 v27, v14, v40
	v_fma_f32 v14, v6, s5, -v9
	v_mul_f32_e32 v8, 0x3f68dda4, v8
	v_add_f32_e32 v46, v46, v49
	v_add_f32_e32 v26, v26, v39
	;; [unrolled: 1-line block ×3, first 2 shown]
	v_mov_b32_e32 v14, v8
	v_add_f32_e32 v43, v43, v46
	v_fmac_f32_e32 v14, 0x3ed4b147, v7
	v_fmac_f32_e32 v9, 0x3ed4b147, v6
	v_fma_f32 v6, v7, s5, -v8
	v_sub_f32_e32 v44, v60, v15
	v_add_f32_e32 v47, v47, v51
	v_add_f32_e32 v40, v14, v43
	;; [unrolled: 1-line block ×4, first 2 shown]
	v_sub_f32_e32 v43, v0, v1
	v_mul_f32_e32 v0, 0xbe903f40, v44
	v_add_f32_e32 v47, v50, v47
	v_fma_f32 v1, v4, s10, -v0
	v_add_f32_e32 v42, v42, v47
	v_fmac_f32_e32 v38, 0xbf75a155, v7
	v_add_f32_e32 v14, v1, v11
	v_mul_f32_e32 v1, 0xbe903f40, v43
	v_add_f32_e32 v38, v38, v42
	v_add_f32_e32 v42, v60, v15
	v_mov_b32_e32 v6, v1
	v_fmac_f32_e32 v6, 0xbf75a155, v42
	v_add_f32_e32 v15, v6, v19
	v_mul_f32_e32 v6, 0x3f0a6770, v44
	v_fma_f32 v1, v42, s10, -v1
	v_fma_f32 v7, v4, s4, -v6
	v_fmac_f32_e32 v0, 0xbf75a155, v4
	v_add_f32_e32 v1, v1, v16
	v_add_f32_e32 v16, v7, v17
	v_mul_f32_e32 v7, 0x3f0a6770, v43
	v_fmac_f32_e32 v6, 0x3f575c64, v4
	v_add_f32_e32 v0, v0, v10
	v_add_f32_e32 v10, v6, v18
	v_fma_f32 v6, v42, s4, -v7
	v_add_f32_e32 v11, v6, v20
	v_mul_f32_e32 v6, 0xbf4178ce, v44
	v_mov_b32_e32 v8, v7
	v_fma_f32 v7, v4, s7, -v6
	v_fmac_f32_e32 v8, 0x3f575c64, v42
	v_add_f32_e32 v18, v7, v21
	v_mul_f32_e32 v7, 0xbf4178ce, v43
	v_add_f32_e32 v17, v8, v22
	v_mov_b32_e32 v8, v7
	v_fmac_f32_e32 v8, 0xbf27a4f4, v42
	v_fmac_f32_e32 v6, 0xbf27a4f4, v4
	v_add_f32_e32 v19, v8, v25
	v_add_f32_e32 v8, v6, v24
	v_fma_f32 v6, v42, s7, -v7
	v_add_f32_e32 v5, v9, v5
	v_add_f32_e32 v9, v6, v23
	v_mul_f32_e32 v6, 0x3f68dda4, v44
	v_fma_f32 v7, v4, s5, -v6
	v_mul_f32_e32 v24, 0xbf7d64f0, v44
	v_add_f32_e32 v20, v7, v26
	v_mul_f32_e32 v7, 0x3f68dda4, v43
	v_fma_f32 v22, v4, s6, -v24
	v_mul_f32_e32 v25, 0xbf7d64f0, v43
	v_fmac_f32_e32 v24, 0xbe11bafb, v4
	v_mov_b32_e32 v21, v7
	v_fmac_f32_e32 v6, 0x3ed4b147, v4
	v_mov_b32_e32 v23, v25
	v_add_f32_e32 v4, v24, v5
	v_fma_f32 v5, v42, s6, -v25
	s_movk_i32 s4, 0x478
	v_mov_b32_e32 v25, 3
	v_fmac_f32_e32 v21, 0x3ed4b147, v42
	v_fmac_f32_e32 v23, 0xbe11bafb, v42
	v_mad_u32_u24 v24, v54, s4, 0
	v_lshlrev_b32_sdwa v25, v25, v55 dst_sel:DWORD dst_unused:UNUSED_PAD src0_sel:DWORD src1_sel:BYTE_0
	v_add_f32_e32 v21, v21, v38
	v_fma_f32 v7, v42, s5, -v7
	v_add_f32_e32 v22, v22, v39
	v_add_f32_e32 v23, v23, v40
	v_add3_u32 v24, v24, v25, v33
	v_add_f32_e32 v6, v6, v37
	v_add_f32_e32 v7, v7, v27
	;; [unrolled: 1-line block ×3, first 2 shown]
	ds_write2_b64 v24, v[12:13], v[14:15] offset1:13
	ds_write2_b64 v24, v[16:17], v[18:19] offset0:26 offset1:39
	ds_write2_b64 v24, v[20:21], v[22:23] offset0:52 offset1:65
	;; [unrolled: 1-line block ×4, first 2 shown]
	ds_write_b64 v24, v[0:1] offset:1040
	s_waitcnt lgkmcnt(0)
	s_barrier
	ds_read2_b64 v[16:19], v35 offset0:15 offset1:158
	ds_read2_b64 v[12:15], v36 offset0:45 offset1:188
	ds_read_b64 v[20:21], v34
	ds_read_b64 v[22:23], v29 offset:5720
	s_movk_i32 s4, 0x41
	v_cmp_gt_u32_e32 vcc, s4, v28
	s_and_saveexec_b64 s[4:5], vcc
	s_cbranch_execz .LBB0_22
; %bb.21:
	v_add_u32_e32 v0, 0x800, v29
	ds_read2_b64 v[8:11], v0 offset0:108 offset1:251
	v_add_u32_e32 v0, 0x1400, v29
	ds_read2_b64 v[4:7], v29 offset0:78 offset1:221
	ds_read2_b64 v[0:3], v0 offset0:10 offset1:153
.LBB0_22:
	s_or_b64 exec, exec, s[4:5]
	v_mul_u32_u24_e32 v24, 5, v28
	v_lshlrev_b32_e32 v24, 3, v24
	global_load_dwordx4 v[33:36], v24, s[8:9] offset:1040
	global_load_dwordx4 v[37:40], v24, s[8:9] offset:1056
	global_load_dwordx2 v[25:26], v24, s[8:9] offset:1072
	v_add_u32_e32 v24, 0x800, v29
	v_add_u32_e32 v27, 0x1000, v29
	s_waitcnt vmcnt(0) lgkmcnt(0)
	s_barrier
	v_mul_f32_e32 v41, v34, v17
	v_mul_f32_e32 v34, v34, v16
	;; [unrolled: 1-line block ×10, first 2 shown]
	v_fmac_f32_e32 v34, v33, v17
	v_fma_f32 v17, v35, v18, -v42
	v_fma_f32 v12, v37, v12, -v43
	v_fmac_f32_e32 v38, v37, v13
	v_fma_f32 v13, v39, v14, -v44
	v_fma_f32 v14, v25, v22, -v45
	v_fmac_f32_e32 v26, v25, v23
	v_fma_f32 v16, v33, v16, -v41
	v_fmac_f32_e32 v36, v35, v19
	v_fmac_f32_e32 v40, v39, v15
	v_add_f32_e32 v18, v17, v13
	v_add_f32_e32 v33, v12, v14
	;; [unrolled: 1-line block ×4, first 2 shown]
	v_sub_f32_e32 v19, v36, v40
	v_add_f32_e32 v22, v21, v36
	v_add_f32_e32 v23, v36, v40
	;; [unrolled: 1-line block ×3, first 2 shown]
	v_sub_f32_e32 v35, v38, v26
	v_add_f32_e32 v36, v34, v38
	v_sub_f32_e32 v38, v12, v14
	v_fma_f32 v18, -0.5, v18, v20
	v_fmac_f32_e32 v16, -0.5, v33
	v_fmac_f32_e32 v34, -0.5, v37
	v_add_f32_e32 v15, v15, v13
	v_add_f32_e32 v20, v22, v40
	v_fmac_f32_e32 v21, -0.5, v23
	v_add_f32_e32 v14, v25, v14
	v_add_f32_e32 v22, v36, v26
	v_mov_b32_e32 v23, v18
	v_mov_b32_e32 v26, v16
	v_fmac_f32_e32 v16, 0xbf5db3d7, v35
	v_mov_b32_e32 v33, v34
	v_fmac_f32_e32 v34, 0x3f5db3d7, v38
	v_sub_f32_e32 v17, v17, v13
	v_fmac_f32_e32 v18, 0xbf5db3d7, v19
	v_add_f32_e32 v12, v15, v14
	v_add_f32_e32 v13, v20, v22
	v_sub_f32_e32 v14, v15, v14
	v_sub_f32_e32 v15, v20, v22
	v_fmac_f32_e32 v23, 0x3f5db3d7, v19
	v_fmac_f32_e32 v26, 0x3f5db3d7, v35
	;; [unrolled: 1-line block ×3, first 2 shown]
	v_mul_f32_e32 v19, -0.5, v16
	v_mul_f32_e32 v20, -0.5, v34
	v_mov_b32_e32 v25, v21
	v_fmac_f32_e32 v21, 0x3f5db3d7, v17
	v_mul_f32_e32 v22, 0x3f5db3d7, v33
	v_fmac_f32_e32 v19, 0x3f5db3d7, v34
	v_mul_f32_e32 v34, 0xbf5db3d7, v26
	v_fmac_f32_e32 v20, 0xbf5db3d7, v16
	v_fmac_f32_e32 v25, 0xbf5db3d7, v17
	v_fmac_f32_e32 v22, 0.5, v26
	v_add_f32_e32 v16, v18, v19
	v_fmac_f32_e32 v34, 0.5, v33
	v_add_f32_e32 v17, v21, v20
	v_sub_f32_e32 v18, v18, v19
	v_sub_f32_e32 v19, v21, v20
	v_add_f32_e32 v20, v23, v22
	v_add_f32_e32 v21, v25, v34
	v_sub_f32_e32 v22, v23, v22
	v_sub_f32_e32 v23, v25, v34
	ds_write2_b64 v24, v[16:17], v[14:15] offset0:30 offset1:173
	ds_write2_b64 v29, v[12:13], v[20:21] offset1:143
	ds_write2_b64 v27, v[22:23], v[18:19] offset0:60 offset1:203
	s_and_saveexec_b64 s[4:5], vcc
	s_cbranch_execz .LBB0_24
; %bb.23:
	v_add_u32_e32 v12, 0x4e, v28
	v_add_u32_e32 v13, 0xffffffbf, v28
	v_cndmask_b32_e32 v12, v13, v12, vcc
	v_mul_i32_i24_e32 v12, 5, v12
	v_mov_b32_e32 v13, 0
	v_lshlrev_b64 v[12:13], 3, v[12:13]
	v_mov_b32_e32 v14, s9
	v_add_co_u32_e32 v20, vcc, s8, v12
	v_addc_co_u32_e32 v21, vcc, v14, v13, vcc
	global_load_dwordx4 v[12:15], v[20:21], off offset:1040
	global_load_dwordx4 v[16:19], v[20:21], off offset:1056
	global_load_dwordx2 v[22:23], v[20:21], off offset:1072
	v_add_u32_e32 v20, 0x1400, v29
	s_waitcnt vmcnt(2)
	v_mul_f32_e32 v21, v9, v15
	s_waitcnt vmcnt(1)
	v_mul_f32_e32 v25, v1, v19
	v_mul_f32_e32 v15, v8, v15
	;; [unrolled: 1-line block ×5, first 2 shown]
	s_waitcnt vmcnt(0)
	v_mul_f32_e32 v33, v3, v23
	v_mul_f32_e32 v17, v10, v17
	;; [unrolled: 1-line block ×4, first 2 shown]
	v_fmac_f32_e32 v15, v9, v14
	v_fmac_f32_e32 v19, v1, v18
	v_fma_f32 v1, v6, v12, -v26
	v_fma_f32 v6, v10, v16, -v27
	;; [unrolled: 1-line block ×3, first 2 shown]
	v_fmac_f32_e32 v17, v11, v16
	v_fmac_f32_e32 v23, v3, v22
	v_fma_f32 v8, v8, v14, -v21
	v_fma_f32 v0, v0, v18, -v25
	v_fmac_f32_e32 v13, v7, v12
	v_add_f32_e32 v3, v15, v19
	v_add_f32_e32 v9, v6, v2
	;; [unrolled: 1-line block ×3, first 2 shown]
	v_sub_f32_e32 v7, v8, v0
	v_sub_f32_e32 v10, v17, v23
	;; [unrolled: 1-line block ×3, first 2 shown]
	v_add_f32_e32 v14, v5, v15
	v_add_f32_e32 v16, v13, v17
	;; [unrolled: 1-line block ×5, first 2 shown]
	v_fma_f32 v18, -0.5, v3, v5
	v_fma_f32 v5, -0.5, v9, v1
	;; [unrolled: 1-line block ×3, first 2 shown]
	v_add_f32_e32 v3, v14, v19
	v_fma_f32 v13, -0.5, v17, v4
	v_add_f32_e32 v4, v8, v0
	v_add_f32_e32 v2, v6, v2
	v_mov_b32_e32 v14, v18
	v_mov_b32_e32 v6, v5
	;; [unrolled: 1-line block ×3, first 2 shown]
	v_fmac_f32_e32 v9, 0xbf5db3d7, v11
	v_fmac_f32_e32 v5, 0x3f5db3d7, v10
	v_sub_f32_e32 v15, v15, v19
	v_add_f32_e32 v12, v16, v23
	v_fmac_f32_e32 v18, 0xbf5db3d7, v7
	v_fmac_f32_e32 v14, 0x3f5db3d7, v7
	;; [unrolled: 1-line block ×4, first 2 shown]
	v_mul_f32_e32 v7, 0xbf5db3d7, v5
	v_mul_f32_e32 v10, 0x3f5db3d7, v9
	v_sub_f32_e32 v1, v3, v12
	v_mov_b32_e32 v16, v13
	v_fmac_f32_e32 v13, 0x3f5db3d7, v15
	v_add_f32_e32 v3, v3, v12
	v_mul_f32_e32 v11, -0.5, v8
	v_fmac_f32_e32 v7, 0.5, v9
	v_mul_f32_e32 v12, -0.5, v6
	v_fmac_f32_e32 v10, 0.5, v5
	v_sub_f32_e32 v0, v4, v2
	v_add_f32_e32 v2, v4, v2
	v_fmac_f32_e32 v16, 0xbf5db3d7, v15
	v_fmac_f32_e32 v11, 0xbf5db3d7, v6
	v_sub_f32_e32 v5, v18, v7
	v_fmac_f32_e32 v12, 0x3f5db3d7, v8
	v_add_f32_e32 v7, v18, v7
	v_add_f32_e32 v6, v13, v10
	v_sub_f32_e32 v4, v13, v10
	v_sub_f32_e32 v9, v14, v11
	;; [unrolled: 1-line block ×3, first 2 shown]
	v_add_f32_e32 v11, v14, v11
	v_add_f32_e32 v10, v16, v12
	ds_write2_b64 v29, v[2:3], v[6:7] offset0:78 offset1:221
	ds_write2_b64 v24, v[10:11], v[0:1] offset0:108 offset1:251
	;; [unrolled: 1-line block ×3, first 2 shown]
.LBB0_24:
	s_or_b64 exec, exec, s[4:5]
	s_waitcnt lgkmcnt(0)
	s_barrier
	s_and_saveexec_b64 s[4:5], s[0:1]
	s_cbranch_execz .LBB0_26
; %bb.25:
	v_lshl_add_u32 v6, v28, 3, v32
	v_mov_b32_e32 v29, 0
	ds_read2_b64 v[0:3], v6 offset1:78
	v_mov_b32_e32 v4, s3
	v_add_co_u32_e32 v7, vcc, s2, v30
	v_addc_co_u32_e32 v8, vcc, v4, v31, vcc
	v_lshlrev_b64 v[4:5], 3, v[28:29]
	v_add_co_u32_e32 v4, vcc, v7, v4
	v_addc_co_u32_e32 v5, vcc, v8, v5, vcc
	s_waitcnt lgkmcnt(0)
	global_store_dwordx2 v[4:5], v[0:1], off
	v_add_u32_e32 v0, 0x4e, v28
	v_mov_b32_e32 v1, v29
	v_lshlrev_b64 v[0:1], 3, v[0:1]
	v_add_u32_e32 v4, 0x9c, v28
	v_add_co_u32_e32 v0, vcc, v7, v0
	v_addc_co_u32_e32 v1, vcc, v8, v1, vcc
	global_store_dwordx2 v[0:1], v[2:3], off
	v_mov_b32_e32 v5, v29
	ds_read2_b64 v[0:3], v6 offset0:156 offset1:234
	v_lshlrev_b64 v[4:5], 3, v[4:5]
	v_add_co_u32_e32 v4, vcc, v7, v4
	v_addc_co_u32_e32 v5, vcc, v8, v5, vcc
	s_waitcnt lgkmcnt(0)
	global_store_dwordx2 v[4:5], v[0:1], off
	v_add_u32_e32 v0, 0xea, v28
	v_mov_b32_e32 v1, v29
	v_lshlrev_b64 v[0:1], 3, v[0:1]
	v_add_u32_e32 v4, 0x138, v28
	v_add_co_u32_e32 v0, vcc, v7, v0
	v_addc_co_u32_e32 v1, vcc, v8, v1, vcc
	global_store_dwordx2 v[0:1], v[2:3], off
	v_add_u32_e32 v0, 0x800, v6
	v_mov_b32_e32 v5, v29
	ds_read2_b64 v[0:3], v0 offset0:56 offset1:134
	v_lshlrev_b64 v[4:5], 3, v[4:5]
	v_add_co_u32_e32 v4, vcc, v7, v4
	v_addc_co_u32_e32 v5, vcc, v8, v5, vcc
	s_waitcnt lgkmcnt(0)
	global_store_dwordx2 v[4:5], v[0:1], off
	v_add_u32_e32 v0, 0x186, v28
	v_mov_b32_e32 v1, v29
	v_lshlrev_b64 v[0:1], 3, v[0:1]
	v_add_u32_e32 v4, 0x1d4, v28
	v_add_co_u32_e32 v0, vcc, v7, v0
	v_addc_co_u32_e32 v1, vcc, v8, v1, vcc
	global_store_dwordx2 v[0:1], v[2:3], off
	v_add_u32_e32 v0, 0xc00, v6
	;; [unrolled: 15-line block ×3, first 2 shown]
	v_mov_b32_e32 v5, v29
	ds_read2_b64 v[0:3], v0 offset0:112 offset1:190
	v_lshlrev_b64 v[4:5], 3, v[4:5]
	v_add_co_u32_e32 v4, vcc, v7, v4
	v_addc_co_u32_e32 v5, vcc, v8, v5, vcc
	s_waitcnt lgkmcnt(0)
	global_store_dwordx2 v[4:5], v[0:1], off
	v_add_u32_e32 v0, 0x2be, v28
	v_mov_b32_e32 v1, v29
	v_lshlrev_b64 v[0:1], 3, v[0:1]
	v_add_u32_e32 v28, 0x30c, v28
	v_add_co_u32_e32 v0, vcc, v7, v0
	v_addc_co_u32_e32 v1, vcc, v8, v1, vcc
	global_store_dwordx2 v[0:1], v[2:3], off
	ds_read_b64 v[0:1], v6 offset:6240
	v_lshlrev_b64 v[2:3], 3, v[28:29]
	v_add_co_u32_e32 v2, vcc, v7, v2
	v_addc_co_u32_e32 v3, vcc, v8, v3, vcc
	s_waitcnt lgkmcnt(0)
	global_store_dwordx2 v[2:3], v[0:1], off
.LBB0_26:
	s_endpgm
	.section	.rodata,"a",@progbits
	.p2align	6, 0x0
	.amdhsa_kernel fft_rtc_fwd_len858_factors_13_11_6_wgs_234_tpt_78_halfLds_sp_ip_CI_unitstride_sbrr_C2R_dirReg
		.amdhsa_group_segment_fixed_size 0
		.amdhsa_private_segment_fixed_size 0
		.amdhsa_kernarg_size 88
		.amdhsa_user_sgpr_count 6
		.amdhsa_user_sgpr_private_segment_buffer 1
		.amdhsa_user_sgpr_dispatch_ptr 0
		.amdhsa_user_sgpr_queue_ptr 0
		.amdhsa_user_sgpr_kernarg_segment_ptr 1
		.amdhsa_user_sgpr_dispatch_id 0
		.amdhsa_user_sgpr_flat_scratch_init 0
		.amdhsa_user_sgpr_private_segment_size 0
		.amdhsa_uses_dynamic_stack 0
		.amdhsa_system_sgpr_private_segment_wavefront_offset 0
		.amdhsa_system_sgpr_workgroup_id_x 1
		.amdhsa_system_sgpr_workgroup_id_y 0
		.amdhsa_system_sgpr_workgroup_id_z 0
		.amdhsa_system_sgpr_workgroup_info 0
		.amdhsa_system_vgpr_workitem_id 0
		.amdhsa_next_free_vgpr 114
		.amdhsa_next_free_sgpr 22
		.amdhsa_reserve_vcc 1
		.amdhsa_reserve_flat_scratch 0
		.amdhsa_float_round_mode_32 0
		.amdhsa_float_round_mode_16_64 0
		.amdhsa_float_denorm_mode_32 3
		.amdhsa_float_denorm_mode_16_64 3
		.amdhsa_dx10_clamp 1
		.amdhsa_ieee_mode 1
		.amdhsa_fp16_overflow 0
		.amdhsa_exception_fp_ieee_invalid_op 0
		.amdhsa_exception_fp_denorm_src 0
		.amdhsa_exception_fp_ieee_div_zero 0
		.amdhsa_exception_fp_ieee_overflow 0
		.amdhsa_exception_fp_ieee_underflow 0
		.amdhsa_exception_fp_ieee_inexact 0
		.amdhsa_exception_int_div_zero 0
	.end_amdhsa_kernel
	.text
.Lfunc_end0:
	.size	fft_rtc_fwd_len858_factors_13_11_6_wgs_234_tpt_78_halfLds_sp_ip_CI_unitstride_sbrr_C2R_dirReg, .Lfunc_end0-fft_rtc_fwd_len858_factors_13_11_6_wgs_234_tpt_78_halfLds_sp_ip_CI_unitstride_sbrr_C2R_dirReg
                                        ; -- End function
	.section	.AMDGPU.csdata,"",@progbits
; Kernel info:
; codeLenInByte = 9244
; NumSgprs: 26
; NumVgprs: 114
; ScratchSize: 0
; MemoryBound: 0
; FloatMode: 240
; IeeeMode: 1
; LDSByteSize: 0 bytes/workgroup (compile time only)
; SGPRBlocks: 3
; VGPRBlocks: 28
; NumSGPRsForWavesPerEU: 26
; NumVGPRsForWavesPerEU: 114
; Occupancy: 2
; WaveLimiterHint : 1
; COMPUTE_PGM_RSRC2:SCRATCH_EN: 0
; COMPUTE_PGM_RSRC2:USER_SGPR: 6
; COMPUTE_PGM_RSRC2:TRAP_HANDLER: 0
; COMPUTE_PGM_RSRC2:TGID_X_EN: 1
; COMPUTE_PGM_RSRC2:TGID_Y_EN: 0
; COMPUTE_PGM_RSRC2:TGID_Z_EN: 0
; COMPUTE_PGM_RSRC2:TIDIG_COMP_CNT: 0
	.type	__hip_cuid_4ef050a5340fe46d,@object ; @__hip_cuid_4ef050a5340fe46d
	.section	.bss,"aw",@nobits
	.globl	__hip_cuid_4ef050a5340fe46d
__hip_cuid_4ef050a5340fe46d:
	.byte	0                               ; 0x0
	.size	__hip_cuid_4ef050a5340fe46d, 1

	.ident	"AMD clang version 19.0.0git (https://github.com/RadeonOpenCompute/llvm-project roc-6.4.0 25133 c7fe45cf4b819c5991fe208aaa96edf142730f1d)"
	.section	".note.GNU-stack","",@progbits
	.addrsig
	.addrsig_sym __hip_cuid_4ef050a5340fe46d
	.amdgpu_metadata
---
amdhsa.kernels:
  - .args:
      - .actual_access:  read_only
        .address_space:  global
        .offset:         0
        .size:           8
        .value_kind:     global_buffer
      - .offset:         8
        .size:           8
        .value_kind:     by_value
      - .actual_access:  read_only
        .address_space:  global
        .offset:         16
        .size:           8
        .value_kind:     global_buffer
      - .actual_access:  read_only
        .address_space:  global
        .offset:         24
        .size:           8
        .value_kind:     global_buffer
      - .offset:         32
        .size:           8
        .value_kind:     by_value
      - .actual_access:  read_only
        .address_space:  global
        .offset:         40
        .size:           8
        .value_kind:     global_buffer
      - .actual_access:  read_only
        .address_space:  global
        .offset:         48
        .size:           8
        .value_kind:     global_buffer
      - .offset:         56
        .size:           4
        .value_kind:     by_value
      - .actual_access:  read_only
        .address_space:  global
        .offset:         64
        .size:           8
        .value_kind:     global_buffer
      - .actual_access:  read_only
        .address_space:  global
        .offset:         72
        .size:           8
        .value_kind:     global_buffer
      - .address_space:  global
        .offset:         80
        .size:           8
        .value_kind:     global_buffer
    .group_segment_fixed_size: 0
    .kernarg_segment_align: 8
    .kernarg_segment_size: 88
    .language:       OpenCL C
    .language_version:
      - 2
      - 0
    .max_flat_workgroup_size: 234
    .name:           fft_rtc_fwd_len858_factors_13_11_6_wgs_234_tpt_78_halfLds_sp_ip_CI_unitstride_sbrr_C2R_dirReg
    .private_segment_fixed_size: 0
    .sgpr_count:     26
    .sgpr_spill_count: 0
    .symbol:         fft_rtc_fwd_len858_factors_13_11_6_wgs_234_tpt_78_halfLds_sp_ip_CI_unitstride_sbrr_C2R_dirReg.kd
    .uniform_work_group_size: 1
    .uses_dynamic_stack: false
    .vgpr_count:     114
    .vgpr_spill_count: 0
    .wavefront_size: 64
amdhsa.target:   amdgcn-amd-amdhsa--gfx906
amdhsa.version:
  - 1
  - 2
...

	.end_amdgpu_metadata
